;; amdgpu-corpus repo=ROCm/rocFFT kind=compiled arch=gfx1030 opt=O3
	.text
	.amdgcn_target "amdgcn-amd-amdhsa--gfx1030"
	.amdhsa_code_object_version 6
	.protected	fft_rtc_back_len756_factors_2_2_3_3_3_7_wgs_63_tpt_63_dp_op_CI_CI_sbrr_dirReg ; -- Begin function fft_rtc_back_len756_factors_2_2_3_3_3_7_wgs_63_tpt_63_dp_op_CI_CI_sbrr_dirReg
	.globl	fft_rtc_back_len756_factors_2_2_3_3_3_7_wgs_63_tpt_63_dp_op_CI_CI_sbrr_dirReg
	.p2align	8
	.type	fft_rtc_back_len756_factors_2_2_3_3_3_7_wgs_63_tpt_63_dp_op_CI_CI_sbrr_dirReg,@function
fft_rtc_back_len756_factors_2_2_3_3_3_7_wgs_63_tpt_63_dp_op_CI_CI_sbrr_dirReg: ; @fft_rtc_back_len756_factors_2_2_3_3_3_7_wgs_63_tpt_63_dp_op_CI_CI_sbrr_dirReg
; %bb.0:
	s_clause 0x2
	s_load_dwordx4 s[16:19], s[4:5], 0x18
	s_load_dwordx4 s[12:15], s[4:5], 0x0
	;; [unrolled: 1-line block ×3, first 2 shown]
	v_mul_u32_u24_e32 v1, 0x411, v0
	v_mov_b32_e32 v3, 0
	s_waitcnt lgkmcnt(0)
	s_load_dwordx2 s[20:21], s[16:17], 0x0
	s_load_dwordx2 s[2:3], s[18:19], 0x0
	v_cmp_lt_u64_e64 s0, s[14:15], 2
	v_add_nc_u32_sdwa v5, s6, v1 dst_sel:DWORD dst_unused:UNUSED_PAD src0_sel:DWORD src1_sel:WORD_1
	v_mov_b32_e32 v1, 0
	v_mov_b32_e32 v6, v3
	;; [unrolled: 1-line block ×3, first 2 shown]
	s_and_b32 vcc_lo, exec_lo, s0
	s_cbranch_vccnz .LBB0_8
; %bb.1:
	s_load_dwordx2 s[0:1], s[4:5], 0x10
	v_mov_b32_e32 v1, 0
	v_mov_b32_e32 v2, 0
	s_add_u32 s6, s18, 8
	s_addc_u32 s7, s19, 0
	s_add_u32 s22, s16, 8
	s_addc_u32 s23, s17, 0
	v_mov_b32_e32 v57, v2
	v_mov_b32_e32 v56, v1
	s_mov_b64 s[26:27], 1
	s_waitcnt lgkmcnt(0)
	s_add_u32 s24, s0, 8
	s_addc_u32 s25, s1, 0
.LBB0_2:                                ; =>This Inner Loop Header: Depth=1
	s_load_dwordx2 s[28:29], s[24:25], 0x0
                                        ; implicit-def: $vgpr58_vgpr59
	s_mov_b32 s0, exec_lo
	s_waitcnt lgkmcnt(0)
	v_or_b32_e32 v4, s29, v6
	v_cmpx_ne_u64_e32 0, v[3:4]
	s_xor_b32 s1, exec_lo, s0
	s_cbranch_execz .LBB0_4
; %bb.3:                                ;   in Loop: Header=BB0_2 Depth=1
	v_cvt_f32_u32_e32 v4, s28
	v_cvt_f32_u32_e32 v7, s29
	s_sub_u32 s0, 0, s28
	s_subb_u32 s30, 0, s29
	v_fmac_f32_e32 v4, 0x4f800000, v7
	v_rcp_f32_e32 v4, v4
	v_mul_f32_e32 v4, 0x5f7ffffc, v4
	v_mul_f32_e32 v7, 0x2f800000, v4
	v_trunc_f32_e32 v7, v7
	v_fmac_f32_e32 v4, 0xcf800000, v7
	v_cvt_u32_f32_e32 v7, v7
	v_cvt_u32_f32_e32 v4, v4
	v_mul_lo_u32 v8, s0, v7
	v_mul_hi_u32 v9, s0, v4
	v_mul_lo_u32 v10, s30, v4
	v_add_nc_u32_e32 v8, v9, v8
	v_mul_lo_u32 v9, s0, v4
	v_add_nc_u32_e32 v8, v8, v10
	v_mul_hi_u32 v10, v4, v9
	v_mul_lo_u32 v11, v4, v8
	v_mul_hi_u32 v12, v4, v8
	v_mul_hi_u32 v13, v7, v9
	v_mul_lo_u32 v9, v7, v9
	v_mul_hi_u32 v14, v7, v8
	v_mul_lo_u32 v8, v7, v8
	v_add_co_u32 v10, vcc_lo, v10, v11
	v_add_co_ci_u32_e32 v11, vcc_lo, 0, v12, vcc_lo
	v_add_co_u32 v9, vcc_lo, v10, v9
	v_add_co_ci_u32_e32 v9, vcc_lo, v11, v13, vcc_lo
	v_add_co_ci_u32_e32 v10, vcc_lo, 0, v14, vcc_lo
	v_add_co_u32 v8, vcc_lo, v9, v8
	v_add_co_ci_u32_e32 v9, vcc_lo, 0, v10, vcc_lo
	v_add_co_u32 v4, vcc_lo, v4, v8
	v_add_co_ci_u32_e32 v7, vcc_lo, v7, v9, vcc_lo
	v_mul_hi_u32 v8, s0, v4
	v_mul_lo_u32 v10, s30, v4
	v_mul_lo_u32 v9, s0, v7
	v_add_nc_u32_e32 v8, v8, v9
	v_mul_lo_u32 v9, s0, v4
	v_add_nc_u32_e32 v8, v8, v10
	v_mul_hi_u32 v10, v4, v9
	v_mul_lo_u32 v11, v4, v8
	v_mul_hi_u32 v12, v4, v8
	v_mul_hi_u32 v13, v7, v9
	v_mul_lo_u32 v9, v7, v9
	v_mul_hi_u32 v14, v7, v8
	v_mul_lo_u32 v8, v7, v8
	v_add_co_u32 v10, vcc_lo, v10, v11
	v_add_co_ci_u32_e32 v11, vcc_lo, 0, v12, vcc_lo
	v_add_co_u32 v9, vcc_lo, v10, v9
	v_add_co_ci_u32_e32 v9, vcc_lo, v11, v13, vcc_lo
	v_add_co_ci_u32_e32 v10, vcc_lo, 0, v14, vcc_lo
	v_add_co_u32 v8, vcc_lo, v9, v8
	v_add_co_ci_u32_e32 v9, vcc_lo, 0, v10, vcc_lo
	v_add_co_u32 v4, vcc_lo, v4, v8
	v_add_co_ci_u32_e32 v11, vcc_lo, v7, v9, vcc_lo
	v_mul_hi_u32 v13, v5, v4
	v_mad_u64_u32 v[9:10], null, v6, v4, 0
	v_mad_u64_u32 v[7:8], null, v5, v11, 0
	v_mad_u64_u32 v[11:12], null, v6, v11, 0
	v_add_co_u32 v4, vcc_lo, v13, v7
	v_add_co_ci_u32_e32 v7, vcc_lo, 0, v8, vcc_lo
	v_add_co_u32 v4, vcc_lo, v4, v9
	v_add_co_ci_u32_e32 v4, vcc_lo, v7, v10, vcc_lo
	v_add_co_ci_u32_e32 v7, vcc_lo, 0, v12, vcc_lo
	v_add_co_u32 v4, vcc_lo, v4, v11
	v_add_co_ci_u32_e32 v9, vcc_lo, 0, v7, vcc_lo
	v_mul_lo_u32 v10, s29, v4
	v_mad_u64_u32 v[7:8], null, s28, v4, 0
	v_mul_lo_u32 v11, s28, v9
	v_sub_co_u32 v7, vcc_lo, v5, v7
	v_add3_u32 v8, v8, v11, v10
	v_sub_nc_u32_e32 v10, v6, v8
	v_subrev_co_ci_u32_e64 v10, s0, s29, v10, vcc_lo
	v_add_co_u32 v11, s0, v4, 2
	v_add_co_ci_u32_e64 v12, s0, 0, v9, s0
	v_sub_co_u32 v13, s0, v7, s28
	v_sub_co_ci_u32_e32 v8, vcc_lo, v6, v8, vcc_lo
	v_subrev_co_ci_u32_e64 v10, s0, 0, v10, s0
	v_cmp_le_u32_e32 vcc_lo, s28, v13
	v_cmp_eq_u32_e64 s0, s29, v8
	v_cndmask_b32_e64 v13, 0, -1, vcc_lo
	v_cmp_le_u32_e32 vcc_lo, s29, v10
	v_cndmask_b32_e64 v14, 0, -1, vcc_lo
	v_cmp_le_u32_e32 vcc_lo, s28, v7
	;; [unrolled: 2-line block ×3, first 2 shown]
	v_cndmask_b32_e64 v15, 0, -1, vcc_lo
	v_cmp_eq_u32_e32 vcc_lo, s29, v10
	v_cndmask_b32_e64 v7, v15, v7, s0
	v_cndmask_b32_e32 v10, v14, v13, vcc_lo
	v_add_co_u32 v13, vcc_lo, v4, 1
	v_add_co_ci_u32_e32 v14, vcc_lo, 0, v9, vcc_lo
	v_cmp_ne_u32_e32 vcc_lo, 0, v10
	v_cndmask_b32_e32 v8, v14, v12, vcc_lo
	v_cndmask_b32_e32 v10, v13, v11, vcc_lo
	v_cmp_ne_u32_e32 vcc_lo, 0, v7
	v_cndmask_b32_e32 v59, v9, v8, vcc_lo
	v_cndmask_b32_e32 v58, v4, v10, vcc_lo
.LBB0_4:                                ;   in Loop: Header=BB0_2 Depth=1
	s_andn2_saveexec_b32 s0, s1
	s_cbranch_execz .LBB0_6
; %bb.5:                                ;   in Loop: Header=BB0_2 Depth=1
	v_cvt_f32_u32_e32 v4, s28
	s_sub_i32 s1, 0, s28
	v_mov_b32_e32 v59, v3
	v_rcp_iflag_f32_e32 v4, v4
	v_mul_f32_e32 v4, 0x4f7ffffe, v4
	v_cvt_u32_f32_e32 v4, v4
	v_mul_lo_u32 v7, s1, v4
	v_mul_hi_u32 v7, v4, v7
	v_add_nc_u32_e32 v4, v4, v7
	v_mul_hi_u32 v4, v5, v4
	v_mul_lo_u32 v7, v4, s28
	v_add_nc_u32_e32 v8, 1, v4
	v_sub_nc_u32_e32 v7, v5, v7
	v_subrev_nc_u32_e32 v9, s28, v7
	v_cmp_le_u32_e32 vcc_lo, s28, v7
	v_cndmask_b32_e32 v7, v7, v9, vcc_lo
	v_cndmask_b32_e32 v4, v4, v8, vcc_lo
	v_cmp_le_u32_e32 vcc_lo, s28, v7
	v_add_nc_u32_e32 v8, 1, v4
	v_cndmask_b32_e32 v58, v4, v8, vcc_lo
.LBB0_6:                                ;   in Loop: Header=BB0_2 Depth=1
	s_or_b32 exec_lo, exec_lo, s0
	v_mul_lo_u32 v4, v59, s28
	v_mul_lo_u32 v9, v58, s29
	s_load_dwordx2 s[0:1], s[22:23], 0x0
	v_mad_u64_u32 v[7:8], null, v58, s28, 0
	s_load_dwordx2 s[28:29], s[6:7], 0x0
	s_add_u32 s26, s26, 1
	s_addc_u32 s27, s27, 0
	s_add_u32 s6, s6, 8
	s_addc_u32 s7, s7, 0
	s_add_u32 s22, s22, 8
	v_add3_u32 v4, v8, v9, v4
	v_sub_co_u32 v5, vcc_lo, v5, v7
	s_addc_u32 s23, s23, 0
	s_add_u32 s24, s24, 8
	v_sub_co_ci_u32_e32 v4, vcc_lo, v6, v4, vcc_lo
	s_addc_u32 s25, s25, 0
	s_waitcnt lgkmcnt(0)
	v_mul_lo_u32 v6, s0, v4
	v_mul_lo_u32 v7, s1, v5
	v_mad_u64_u32 v[1:2], null, s0, v5, v[1:2]
	v_mul_lo_u32 v4, s28, v4
	v_mul_lo_u32 v8, s29, v5
	v_mad_u64_u32 v[56:57], null, s28, v5, v[56:57]
	v_cmp_ge_u64_e64 s0, s[26:27], s[14:15]
	v_add3_u32 v2, v7, v2, v6
	v_add3_u32 v57, v8, v57, v4
	s_and_b32 vcc_lo, exec_lo, s0
	s_cbranch_vccnz .LBB0_9
; %bb.7:                                ;   in Loop: Header=BB0_2 Depth=1
	v_mov_b32_e32 v5, v58
	v_mov_b32_e32 v6, v59
	s_branch .LBB0_2
.LBB0_8:
	v_mov_b32_e32 v57, v2
	v_mov_b32_e32 v59, v6
	;; [unrolled: 1-line block ×4, first 2 shown]
.LBB0_9:
	s_load_dwordx2 s[0:1], s[4:5], 0x28
	v_mul_hi_u32 v5, 0x4104105, v0
	s_lshl_b64 s[6:7], s[14:15], 3
                                        ; implicit-def: $vgpr60
                                        ; implicit-def: $vgpr61
                                        ; implicit-def: $vgpr48
                                        ; implicit-def: $vgpr49
                                        ; implicit-def: $vgpr3
                                        ; implicit-def: $vgpr4
	s_add_u32 s4, s18, s6
	s_addc_u32 s5, s19, s7
	s_waitcnt lgkmcnt(0)
	v_cmp_gt_u64_e32 vcc_lo, s[0:1], v[58:59]
	v_cmp_le_u64_e64 s0, s[0:1], v[58:59]
	s_and_saveexec_b32 s1, s0
	s_xor_b32 s0, exec_lo, s1
; %bb.10:
	v_mul_u32_u24_e32 v1, 63, v5
                                        ; implicit-def: $vgpr5
	v_sub_nc_u32_e32 v60, v0, v1
                                        ; implicit-def: $vgpr0
                                        ; implicit-def: $vgpr1_vgpr2
	v_add_nc_u32_e32 v61, 63, v60
	v_add_nc_u32_e32 v48, 0x7e, v60
	;; [unrolled: 1-line block ×5, first 2 shown]
; %bb.11:
	s_andn2_saveexec_b32 s1, s0
	s_cbranch_execz .LBB0_13
; %bb.12:
	s_add_u32 s6, s16, s6
	s_addc_u32 s7, s17, s7
	v_mul_u32_u24_e32 v3, 63, v5
	s_load_dwordx2 s[6:7], s[6:7], 0x0
	v_sub_nc_u32_e32 v60, v0, v3
	v_mad_u64_u32 v[4:5], null, s20, v60, 0
	v_add_nc_u32_e32 v61, 63, v60
	v_add_nc_u32_e32 v48, 0x7e, v60
	;; [unrolled: 1-line block ×5, first 2 shown]
	v_mad_u64_u32 v[6:7], null, s20, v61, 0
	v_mov_b32_e32 v0, v5
	v_mad_u64_u32 v[13:14], null, s20, v48, 0
	s_waitcnt lgkmcnt(0)
	v_mul_lo_u32 v5, s7, v58
	v_mul_lo_u32 v12, s6, v59
	v_mad_u64_u32 v[8:9], null, s6, v58, 0
	v_mad_u64_u32 v[10:11], null, s21, v60, v[0:1]
	v_lshlrev_b64 v[0:1], 4, v[1:2]
	v_mov_b32_e32 v2, v7
	v_mov_b32_e32 v7, v14
	v_mad_u64_u32 v[15:16], null, s20, v49, 0
	v_add3_u32 v9, v9, v12, v5
	v_mad_u64_u32 v[19:20], null, s21, v61, v[2:3]
	v_mov_b32_e32 v5, v10
	v_mad_u64_u32 v[17:18], null, s20, v3, 0
	v_lshlrev_b64 v[8:9], 4, v[8:9]
	v_mov_b32_e32 v11, v16
	v_lshlrev_b64 v[4:5], 4, v[4:5]
	v_mad_u64_u32 v[29:30], null, s20, v25, 0
	v_add_nc_u32_e32 v27, 0x1b9, v60
	v_add_co_u32 v2, s0, s8, v8
	v_mad_u64_u32 v[20:21], null, s21, v48, v[7:8]
	v_add_co_ci_u32_e64 v8, s0, s9, v9, s0
	v_mov_b32_e32 v7, v19
	v_add_co_u32 v47, s0, v2, v0
	v_add_co_ci_u32_e64 v55, s0, v8, v1, s0
	v_lshlrev_b64 v[0:1], 4, v[6:7]
	v_add_co_u32 v6, s0, v47, v4
	v_add_co_ci_u32_e64 v7, s0, v55, v5, s0
	v_add_nc_u32_e32 v4, 0x13b, v60
	v_add_co_u32 v0, s0, v47, v0
	v_mov_b32_e32 v14, v20
	v_mad_u64_u32 v[19:20], null, s21, v49, v[11:12]
	v_mov_b32_e32 v2, v18
	v_add_co_ci_u32_e64 v1, s0, v55, v1, s0
	v_mad_u64_u32 v[21:22], null, s20, v4, 0
	s_clause 0x1
	global_load_dwordx4 v[5:8], v[6:7], off
	global_load_dwordx4 v[9:12], v[0:1], off
	v_lshlrev_b64 v[0:1], 4, v[13:14]
	v_mad_u64_u32 v[13:14], null, s21, v3, v[2:3]
	v_mov_b32_e32 v16, v19
	v_mad_u64_u32 v[31:32], null, s20, v27, 0
	v_mov_b32_e32 v2, v22
	v_add_co_u32 v0, s0, v47, v0
	v_lshlrev_b64 v[14:15], 4, v[15:16]
	v_mov_b32_e32 v18, v13
	v_add_co_ci_u32_e64 v1, s0, v55, v1, s0
	v_mad_u64_u32 v[22:23], null, s21, v4, v[2:3]
	v_add_co_u32 v19, s0, v47, v14
	v_lshlrev_b64 v[23:24], 4, v[17:18]
	v_add_co_ci_u32_e64 v20, s0, v55, v15, s0
	v_mov_b32_e32 v2, v30
	s_clause 0x1
	global_load_dwordx4 v[13:16], v[0:1], off
	global_load_dwordx4 v[17:20], v[19:20], off
	v_add_co_u32 v0, s0, v47, v23
	v_add_co_ci_u32_e64 v1, s0, v55, v24, s0
	v_mad_u64_u32 v[23:24], null, s21, v25, v[2:3]
	v_lshlrev_b64 v[21:22], 4, v[21:22]
	v_add_nc_u32_e32 v38, 0x1f8, v60
	v_mov_b32_e32 v2, v32
	v_add_nc_u32_e32 v40, 0x237, v60
	v_add_nc_u32_e32 v45, 0x2b5, v60
	v_mad_u64_u32 v[33:34], null, s20, v38, 0
	v_add_co_u32 v25, s0, v47, v21
	v_mad_u64_u32 v[35:36], null, s21, v27, v[2:3]
	v_mov_b32_e32 v30, v23
	v_add_co_ci_u32_e64 v26, s0, v55, v22, s0
	v_mad_u64_u32 v[36:37], null, s20, v40, 0
	s_clause 0x1
	global_load_dwordx4 v[21:24], v[0:1], off
	global_load_dwordx4 v[25:28], v[25:26], off
	v_lshlrev_b64 v[1:2], 4, v[29:30]
	v_mov_b32_e32 v0, v34
	v_mov_b32_e32 v32, v35
	v_add_nc_u32_e32 v35, 0x276, v60
	v_mad_u64_u32 v[29:30], null, s21, v38, v[0:1]
	v_mov_b32_e32 v0, v37
	v_mad_u64_u32 v[38:39], null, s20, v35, 0
	v_lshlrev_b64 v[30:31], 4, v[31:32]
	v_mad_u64_u32 v[40:41], null, s21, v40, v[0:1]
	v_mad_u64_u32 v[41:42], null, s20, v45, 0
	v_add_co_u32 v0, s0, v47, v1
	v_add_co_ci_u32_e64 v1, s0, v55, v2, s0
	v_mov_b32_e32 v2, v39
	v_mov_b32_e32 v37, v40
	;; [unrolled: 1-line block ×3, first 2 shown]
	v_add_co_u32 v43, s0, v47, v30
	v_mad_u64_u32 v[39:40], null, s21, v35, v[2:3]
	v_mov_b32_e32 v2, v42
	v_add_co_ci_u32_e64 v44, s0, v55, v31, s0
	v_lshlrev_b64 v[29:30], 4, v[33:34]
	v_mad_u64_u32 v[31:32], null, s21, v45, v[2:3]
	v_lshlrev_b64 v[32:33], 4, v[36:37]
	v_add_co_u32 v45, s0, v47, v29
	v_add_co_ci_u32_e64 v46, s0, v55, v30, s0
	v_mov_b32_e32 v42, v31
	v_lshlrev_b64 v[29:30], 4, v[38:39]
	v_add_co_u32 v50, s0, v47, v32
	v_add_co_ci_u32_e64 v51, s0, v55, v33, s0
	v_lshlrev_b64 v[31:32], 4, v[41:42]
	v_add_co_u32 v52, s0, v47, v29
	v_add_co_ci_u32_e64 v53, s0, v55, v30, s0
	v_add_co_u32 v54, s0, v47, v31
	v_add_co_ci_u32_e64 v55, s0, v55, v32, s0
	s_clause 0x5
	global_load_dwordx4 v[29:32], v[0:1], off
	global_load_dwordx4 v[33:36], v[43:44], off
	;; [unrolled: 1-line block ×6, first 2 shown]
	v_lshl_add_u32 v0, v60, 4, 0
	s_waitcnt vmcnt(11)
	ds_write_b128 v0, v[5:8]
	s_waitcnt vmcnt(10)
	ds_write_b128 v0, v[9:12] offset:1008
	s_waitcnt vmcnt(9)
	ds_write_b128 v0, v[13:16] offset:2016
	;; [unrolled: 2-line block ×11, first 2 shown]
.LBB0_13:
	s_or_b32 exec_lo, exec_lo, s1
	v_lshlrev_b32_e32 v1, 4, v60
	s_load_dwordx2 s[4:5], s[4:5], 0x0
	s_waitcnt lgkmcnt(0)
	s_barrier
	buffer_gl0_inv
	v_add_nc_u32_e32 v62, 0, v1
	v_and_b32_e32 v0, 1, v60
	v_and_b32_e32 v91, 1, v61
	;; [unrolled: 1-line block ×3, first 2 shown]
	v_lshl_add_u32 v47, v48, 5, 0
	ds_read_b128 v[5:8], v62 offset:6048
	ds_read_b128 v[9:12], v62
	ds_read_b128 v[13:16], v62 offset:1008
	ds_read_b128 v[17:20], v62 offset:7056
	;; [unrolled: 1-line block ×10, first 2 shown]
	v_lshlrev_b32_e32 v2, 4, v0
	v_add_nc_u32_e32 v1, v62, v1
	v_lshlrev_b32_e32 v45, 4, v91
	v_and_b32_e32 v93, 1, v4
	v_lshlrev_b32_e32 v46, 4, v92
	v_lshl_add_u32 v73, v49, 5, 0
	v_lshl_add_u32 v74, v3, 5, 0
	;; [unrolled: 1-line block ×3, first 2 shown]
	s_waitcnt lgkmcnt(0)
	v_add_f64 v[5:6], v[9:10], -v[5:6]
	v_add_f64 v[7:8], v[11:12], -v[7:8]
	;; [unrolled: 1-line block ×12, first 2 shown]
	v_lshl_add_u32 v63, v61, 5, 0
	s_barrier
	buffer_gl0_inv
	v_lshlrev_b32_e32 v64, 4, v61
	v_lshlrev_b32_e32 v76, 4, v4
	v_lshrrev_b32_e32 v101, 2, v61
	v_lshrrev_b32_e32 v99, 2, v60
	;; [unrolled: 1-line block ×4, first 2 shown]
	v_and_b32_e32 v100, 0xff, v60
	v_fma_f64 v[9:10], v[9:10], 2.0, -v[5:6]
	v_fma_f64 v[11:12], v[11:12], 2.0, -v[7:8]
	;; [unrolled: 1-line block ×12, first 2 shown]
	s_mov_b32 s6, 0xe8584caa
	s_mov_b32 s7, 0xbfebb67a
	;; [unrolled: 1-line block ×4, first 2 shown]
	v_cmp_gt_u32_e64 s0, 36, v60
	ds_write_b128 v1, v[5:8] offset:16
	ds_write_b128 v63, v[17:20] offset:16
	;; [unrolled: 1-line block ×6, first 2 shown]
	ds_write_b128 v1, v[9:12]
	ds_write_b128 v63, v[13:16]
	;; [unrolled: 1-line block ×6, first 2 shown]
	s_waitcnt lgkmcnt(0)
	s_barrier
	buffer_gl0_inv
	s_clause 0x2
	global_load_dwordx4 v[5:8], v2, s[12:13]
	global_load_dwordx4 v[9:12], v45, s[12:13]
	;; [unrolled: 1-line block ×3, first 2 shown]
	v_lshlrev_b32_e32 v1, 4, v93
	v_lshlrev_b32_e32 v50, 4, v48
	;; [unrolled: 1-line block ×3, first 2 shown]
	v_sub_nc_u32_e32 v51, v63, v64
	v_lshlrev_b32_e32 v53, 4, v3
	global_load_dwordx4 v[17:20], v1, s[12:13]
	ds_read_b128 v[21:24], v62 offset:6048
	ds_read_b128 v[25:28], v62 offset:7056
	;; [unrolled: 1-line block ×6, first 2 shown]
	v_sub_nc_u32_e32 v50, v47, v50
	v_sub_nc_u32_e32 v52, v73, v52
	ds_read_b128 v[65:68], v62
	ds_read_b128 v[69:72], v51
	v_sub_nc_u32_e32 v53, v74, v53
	v_sub_nc_u32_e32 v47, v75, v76
	ds_read_b128 v[73:76], v50
	ds_read_b128 v[77:80], v52
	v_lshlrev_b32_e32 v3, 1, v3
	s_waitcnt vmcnt(3) lgkmcnt(9)
	v_mul_f64 v[1:2], v[23:24], v[7:8]
	v_mul_f64 v[45:46], v[21:22], v[7:8]
	s_waitcnt vmcnt(2) lgkmcnt(8)
	v_mul_f64 v[54:55], v[27:28], v[11:12]
	v_mul_f64 v[11:12], v[25:26], v[11:12]
	s_waitcnt vmcnt(1) lgkmcnt(7)
	v_mul_f64 v[81:82], v[31:32], v[15:16]
	s_waitcnt lgkmcnt(6)
	v_mul_f64 v[83:84], v[35:36], v[7:8]
	v_mul_f64 v[85:86], v[33:34], v[7:8]
	;; [unrolled: 1-line block ×3, first 2 shown]
	s_waitcnt lgkmcnt(5)
	v_mul_f64 v[87:88], v[39:40], v[7:8]
	v_mul_f64 v[7:8], v[37:38], v[7:8]
	s_waitcnt vmcnt(0) lgkmcnt(4)
	v_mul_f64 v[89:90], v[43:44], v[19:20]
	v_mul_f64 v[19:20], v[41:42], v[19:20]
	v_fma_f64 v[1:2], v[21:22], v[5:6], v[1:2]
	v_fma_f64 v[21:22], v[23:24], v[5:6], -v[45:46]
	v_fma_f64 v[23:24], v[25:26], v[9:10], v[54:55]
	v_fma_f64 v[25:26], v[27:28], v[9:10], -v[11:12]
	v_fma_f64 v[27:28], v[29:30], v[13:14], v[81:82]
	v_fma_f64 v[29:30], v[33:34], v[5:6], v[83:84]
	v_fma_f64 v[33:34], v[35:36], v[5:6], -v[85:86]
	v_fma_f64 v[31:32], v[31:32], v[13:14], -v[15:16]
	v_fma_f64 v[35:36], v[37:38], v[5:6], v[87:88]
	v_fma_f64 v[37:38], v[39:40], v[5:6], -v[7:8]
	v_fma_f64 v[39:40], v[41:42], v[17:18], v[89:90]
	ds_read_b128 v[5:8], v53
	ds_read_b128 v[9:12], v47
	v_fma_f64 v[41:42], v[43:44], v[17:18], -v[19:20]
	v_lshlrev_b32_e32 v43, 1, v60
	v_lshlrev_b32_e32 v45, 1, v61
	v_and_or_b32 v47, 0x3fc, v3, v0
	v_and_b32_e32 v44, 3, v60
	s_waitcnt lgkmcnt(0)
	s_barrier
	buffer_gl0_inv
	v_add_f64 v[13:14], v[65:66], -v[1:2]
	v_add_f64 v[15:16], v[67:68], -v[21:22]
	;; [unrolled: 1-line block ×8, first 2 shown]
	v_lshlrev_b32_e32 v1, 1, v48
	v_add_f64 v[29:30], v[5:6], -v[35:36]
	v_add_f64 v[31:32], v[7:8], -v[37:38]
	;; [unrolled: 1-line block ×3, first 2 shown]
	v_lshlrev_b32_e32 v2, 1, v49
	v_add_f64 v[35:36], v[11:12], -v[41:42]
	v_and_or_b32 v42, 0x7c, v43, v0
	v_and_or_b32 v43, 0xfc, v45, v91
	;; [unrolled: 1-line block ×4, first 2 shown]
	v_lshlrev_b32_e32 v41, 1, v4
	v_lshlrev_b32_e32 v54, 5, v44
	v_fma_f64 v[0:1], v[65:66], 2.0, -v[13:14]
	v_fma_f64 v[2:3], v[67:68], 2.0, -v[15:16]
	;; [unrolled: 1-line block ×12, first 2 shown]
	v_and_or_b32 v12, 0x2fc, v41, v93
	v_lshl_add_u32 v41, v42, 4, 0
	v_lshl_add_u32 v42, v43, 4, 0
	;; [unrolled: 1-line block ×6, first 2 shown]
	ds_write_b128 v41, v[13:16] offset:32
	ds_write_b128 v41, v[0:3]
	ds_write_b128 v42, v[37:40]
	ds_write_b128 v42, v[17:20] offset:32
	ds_write_b128 v43, v[65:68]
	ds_write_b128 v43, v[21:24] offset:32
	;; [unrolled: 2-line block ×5, first 2 shown]
	s_waitcnt lgkmcnt(0)
	s_barrier
	buffer_gl0_inv
	s_clause 0x1
	global_load_dwordx4 v[40:43], v54, s[12:13] offset:32
	global_load_dwordx4 v[65:68], v54, s[12:13] offset:48
	v_and_b32_e32 v45, 3, v61
	v_and_b32_e32 v46, 3, v48
	;; [unrolled: 1-line block ×3, first 2 shown]
	v_lshlrev_b32_e32 v0, 5, v45
	v_lshlrev_b32_e32 v1, 5, v46
	s_clause 0x2
	global_load_dwordx4 v[69:72], v0, s[12:13] offset:32
	global_load_dwordx4 v[12:15], v0, s[12:13] offset:48
	;; [unrolled: 1-line block ×3, first 2 shown]
	v_lshlrev_b32_e32 v0, 5, v47
	s_clause 0x2
	global_load_dwordx4 v[8:11], v1, s[12:13] offset:48
	global_load_dwordx4 v[16:19], v0, s[12:13] offset:32
	;; [unrolled: 1-line block ×3, first 2 shown]
	ds_read_b128 v[73:76], v53
	ds_read_b128 v[77:80], v62 offset:8064
	ds_read_b128 v[81:84], v62 offset:5040
	ds_read_b128 v[0:3], v52
	ds_read_b128 v[24:27], v62 offset:9072
	ds_read_b128 v[28:31], v62 offset:6048
	;; [unrolled: 1-line block ×5, first 2 shown]
	ds_read_b128 v[36:39], v62
	s_waitcnt vmcnt(7) lgkmcnt(9)
	v_mul_f64 v[54:55], v[75:76], v[42:43]
	v_mul_f64 v[42:43], v[73:74], v[42:43]
	s_waitcnt vmcnt(6) lgkmcnt(8)
	v_mul_f64 v[93:94], v[79:80], v[67:68]
	v_mul_f64 v[67:68], v[77:78], v[67:68]
	;; [unrolled: 3-line block ×4, first 2 shown]
	v_fma_f64 v[73:74], v[73:74], v[40:41], v[54:55]
	v_fma_f64 v[40:41], v[75:76], v[40:41], -v[42:43]
	s_waitcnt vmcnt(3) lgkmcnt(4)
	v_mul_f64 v[42:43], v[30:31], v[6:7]
	v_mul_f64 v[6:7], v[28:29], v[6:7]
	s_waitcnt vmcnt(2) lgkmcnt(3)
	v_mul_f64 v[75:76], v[34:35], v[10:11]
	v_mul_f64 v[10:11], v[32:33], v[10:11]
	v_fma_f64 v[77:78], v[77:78], v[65:66], v[93:94]
	v_fma_f64 v[79:80], v[79:80], v[65:66], -v[67:68]
	s_waitcnt vmcnt(1) lgkmcnt(2)
	v_mul_f64 v[67:68], v[87:88], v[18:19]
	s_waitcnt vmcnt(0) lgkmcnt(1)
	v_mul_f64 v[93:94], v[91:92], v[22:23]
	v_mul_f64 v[18:19], v[85:86], v[18:19]
	;; [unrolled: 1-line block ×3, first 2 shown]
	v_fma_f64 v[81:82], v[81:82], v[69:70], v[95:96]
	v_fma_f64 v[69:70], v[83:84], v[69:70], -v[71:72]
	v_fma_f64 v[24:25], v[24:25], v[12:13], v[97:98]
	v_fma_f64 v[12:13], v[26:27], v[12:13], -v[14:15]
	v_and_b32_e32 v65, 0xff, v61
	v_mul_lo_u32 v83, v101, 12
	v_mul_u32_u24_e32 v71, 12, v99
	v_mul_lo_u32 v84, v102, 12
	v_mul_lo_u16 v72, 0xab, v100
	v_and_b32_e32 v55, 0xff, v48
	v_mov_b32_e32 v54, 5
	v_or_b32_e32 v105, v71, v44
	v_fma_f64 v[14:15], v[28:29], v[4:5], v[42:43]
	v_fma_f64 v[28:29], v[30:31], v[4:5], -v[6:7]
	v_fma_f64 v[26:27], v[32:33], v[8:9], v[75:76]
	v_fma_f64 v[30:31], v[34:35], v[8:9], -v[10:11]
	v_mul_lo_u32 v75, v103, 12
	v_or_b32_e32 v106, v83, v45
	v_fma_f64 v[32:33], v[85:86], v[16:17], v[67:68]
	v_fma_f64 v[34:35], v[89:90], v[20:21], v[93:94]
	v_fma_f64 v[16:17], v[87:88], v[16:17], -v[18:19]
	v_fma_f64 v[18:19], v[91:92], v[20:21], -v[22:23]
	v_mul_lo_u16 v20, 0xab, v65
	v_add_f64 v[22:23], v[40:41], v[79:80]
	v_add_f64 v[42:43], v[81:82], v[24:25]
	;; [unrolled: 1-line block ×3, first 2 shown]
	ds_read_b128 v[4:7], v51
	ds_read_b128 v[8:11], v50
	v_lshrrev_b16 v68, 11, v20
	v_add_f64 v[20:21], v[73:74], v[77:78]
	v_or_b32_e32 v107, v84, v46
	v_or_b32_e32 v108, v75, v47
	v_lshrrev_b16 v67, 11, v72
	s_waitcnt lgkmcnt(2)
	v_add_f64 v[71:72], v[36:37], v[73:74]
	v_add_f64 v[83:84], v[38:39], v[40:41]
	v_add_f64 v[40:41], v[40:41], -v[79:80]
	v_add_f64 v[46:47], v[14:15], v[26:27]
	v_add_f64 v[75:76], v[28:29], v[30:31]
	v_add_f64 v[73:74], v[73:74], -v[77:78]
	v_mul_lo_u16 v109, v67, 12
	v_add_f64 v[99:100], v[0:1], v[32:33]
	v_add_f64 v[85:86], v[32:33], v[34:35]
	;; [unrolled: 1-line block ×4, first 2 shown]
	v_add_f64 v[101:102], v[16:17], -v[18:19]
	v_fma_f64 v[22:23], v[22:23], -0.5, v[38:39]
	s_waitcnt lgkmcnt(1)
	v_add_f64 v[89:90], v[6:7], v[69:70]
	v_add_f64 v[91:92], v[4:5], v[81:82]
	s_waitcnt lgkmcnt(0)
	v_add_f64 v[95:96], v[8:9], v[14:15]
	v_add_f64 v[38:39], v[81:82], -v[24:25]
	v_fma_f64 v[42:43], v[42:43], -0.5, v[4:5]
	v_fma_f64 v[20:21], v[20:21], -0.5, v[36:37]
	v_add_f64 v[36:37], v[69:70], -v[12:13]
	v_fma_f64 v[44:45], v[44:45], -0.5, v[6:7]
	v_add_f64 v[93:94], v[10:11], v[28:29]
	v_add_f64 v[69:70], v[28:29], -v[30:31]
	v_add_f64 v[81:82], v[14:15], -v[26:27]
	;; [unrolled: 1-line block ×3, first 2 shown]
	v_fma_f64 v[46:47], v[46:47], -0.5, v[8:9]
	v_fma_f64 v[75:76], v[75:76], -0.5, v[10:11]
	s_barrier
	buffer_gl0_inv
	v_fma_f64 v[85:86], v[85:86], -0.5, v[0:1]
	v_add_f64 v[0:1], v[71:72], v[77:78]
	v_fma_f64 v[71:72], v[87:88], -0.5, v[2:3]
	v_add_f64 v[2:3], v[83:84], v[79:80]
	v_add_f64 v[14:15], v[97:98], v[18:19]
	v_fma_f64 v[18:19], v[73:74], s[8:9], v[22:23]
	v_fma_f64 v[22:23], v[73:74], s[6:7], v[22:23]
	v_add_f64 v[6:7], v[89:90], v[12:13]
	v_add_f64 v[4:5], v[91:92], v[24:25]
	v_add_f64 v[8:9], v[95:96], v[26:27]
	v_fma_f64 v[16:17], v[40:41], s[6:7], v[20:21]
	v_fma_f64 v[20:21], v[40:41], s[8:9], v[20:21]
	;; [unrolled: 1-line block ×4, first 2 shown]
	v_add_f64 v[10:11], v[93:94], v[30:31]
	v_fma_f64 v[28:29], v[36:37], s[8:9], v[42:43]
	v_fma_f64 v[30:31], v[38:39], s[6:7], v[44:45]
	v_add_f64 v[12:13], v[99:100], v[34:35]
	v_fma_f64 v[32:33], v[69:70], s[6:7], v[46:47]
	v_fma_f64 v[34:35], v[81:82], s[8:9], v[75:76]
	;; [unrolled: 1-line block ×8, first 2 shown]
	v_lshl_add_u32 v70, v105, 4, 0
	v_mul_lo_u16 v71, v68, 12
	v_sub_nc_u16 v69, v60, v109
	v_lshl_add_u32 v72, v106, 4, 0
	v_lshl_add_u32 v73, v107, 4, 0
	;; [unrolled: 1-line block ×3, first 2 shown]
	ds_write_b128 v70, v[0:3]
	ds_write_b128 v70, v[16:19] offset:64
	ds_write_b128 v70, v[20:23] offset:128
	ds_write_b128 v72, v[4:7]
	ds_write_b128 v72, v[24:27] offset:64
	ds_write_b128 v72, v[28:31] offset:128
	;; [unrolled: 3-line block ×4, first 2 shown]
	v_mul_lo_u16 v0, 0xab, v55
	v_sub_nc_u16 v70, v61, v71
	v_lshlrev_b32_sdwa v79, v54, v69 dst_sel:DWORD dst_unused:UNUSED_PAD src0_sel:DWORD src1_sel:BYTE_0
	v_and_b32_e32 v66, 0xff, v49
	s_waitcnt lgkmcnt(0)
	v_lshrrev_b16 v73, 11, v0
	v_lshlrev_b32_sdwa v0, v54, v70 dst_sel:DWORD dst_unused:UNUSED_PAD src0_sel:DWORD src1_sel:BYTE_0
	s_barrier
	buffer_gl0_inv
	global_load_dwordx4 v[75:78], v79, s[12:13] offset:160
	v_mul_lo_u16 v1, 0xab, v66
	s_clause 0x1
	global_load_dwordx4 v[83:86], v0, s[12:13] offset:160
	global_load_dwordx4 v[79:82], v79, s[12:13] offset:176
	v_subrev_nc_u32_e32 v105, 36, v60
	v_lshrrev_b16 v74, 11, v1
	v_mul_lo_u16 v1, v73, 12
	v_sub_nc_u16 v71, v48, v1
	v_mul_lo_u16 v1, v74, 12
	v_lshlrev_b32_sdwa v2, v54, v71 dst_sel:DWORD dst_unused:UNUSED_PAD src0_sel:DWORD src1_sel:BYTE_0
	v_sub_nc_u16 v72, v49, v1
	s_clause 0x1
	global_load_dwordx4 v[12:15], v0, s[12:13] offset:176
	global_load_dwordx4 v[4:7], v2, s[12:13] offset:160
	v_lshlrev_b32_sdwa v0, v54, v72 dst_sel:DWORD dst_unused:UNUSED_PAD src0_sel:DWORD src1_sel:BYTE_0
	s_clause 0x2
	global_load_dwordx4 v[8:11], v2, s[12:13] offset:176
	global_load_dwordx4 v[16:19], v0, s[12:13] offset:160
	;; [unrolled: 1-line block ×3, first 2 shown]
	ds_read_b128 v[87:90], v53
	ds_read_b128 v[91:94], v62 offset:8064
	ds_read_b128 v[95:98], v62 offset:5040
	ds_read_b128 v[0:3], v52
	ds_read_b128 v[40:43], v62 offset:9072
	ds_read_b128 v[36:39], v62 offset:6048
	ds_read_b128 v[28:31], v62 offset:7056
	ds_read_b128 v[44:47], v62 offset:10080
	ds_read_b128 v[32:35], v62 offset:11088
	ds_read_b128 v[20:23], v62
	s_waitcnt vmcnt(7) lgkmcnt(9)
	v_mul_f64 v[99:100], v[89:90], v[77:78]
	v_mul_f64 v[77:78], v[87:88], v[77:78]
	s_waitcnt vmcnt(6) lgkmcnt(7)
	v_mul_f64 v[103:104], v[97:98], v[85:86]
	s_waitcnt vmcnt(5)
	v_mul_f64 v[101:102], v[93:94], v[81:82]
	v_mul_f64 v[81:82], v[91:92], v[81:82]
	;; [unrolled: 1-line block ×3, first 2 shown]
	v_fma_f64 v[87:88], v[87:88], v[75:76], v[99:100]
	v_fma_f64 v[75:76], v[89:90], v[75:76], -v[77:78]
	s_waitcnt vmcnt(4) lgkmcnt(5)
	v_mul_f64 v[77:78], v[42:43], v[14:15]
	v_mul_f64 v[14:15], v[40:41], v[14:15]
	s_waitcnt vmcnt(3) lgkmcnt(4)
	v_mul_f64 v[89:90], v[38:39], v[6:7]
	v_mul_f64 v[99:100], v[36:37], v[6:7]
	v_fma_f64 v[91:92], v[91:92], v[79:80], v[101:102]
	v_fma_f64 v[79:80], v[93:94], v[79:80], -v[81:82]
	s_waitcnt vmcnt(2) lgkmcnt(2)
	v_mul_f64 v[81:82], v[46:47], v[10:11]
	v_mul_f64 v[10:11], v[44:45], v[10:11]
	s_waitcnt vmcnt(1)
	v_mul_f64 v[93:94], v[30:31], v[18:19]
	s_waitcnt vmcnt(0) lgkmcnt(1)
	v_mul_f64 v[101:102], v[34:35], v[26:27]
	v_fma_f64 v[95:96], v[95:96], v[83:84], v[103:104]
	v_fma_f64 v[83:84], v[97:98], v[83:84], -v[85:86]
	v_mul_f64 v[18:19], v[28:29], v[18:19]
	v_mul_f64 v[85:86], v[32:33], v[26:27]
	v_mul_lo_u16 v27, v55, 57
	v_mul_lo_u16 v7, v65, 57
	v_mov_b32_e32 v103, 0x240
	v_mov_b32_e32 v26, 4
	v_mul_lo_u16 v55, v66, 57
	v_lshrrev_b16 v112, 11, v27
	v_lshrrev_b16 v111, 11, v7
	v_mul_u32_u24_sdwa v113, v67, v103 dst_sel:DWORD dst_unused:UNUSED_PAD src0_sel:WORD_0 src1_sel:DWORD
	v_fma_f64 v[40:41], v[40:41], v[12:13], v[77:78]
	v_fma_f64 v[42:43], v[42:43], v[12:13], -v[14:15]
	v_fma_f64 v[36:37], v[36:37], v[4:5], v[89:90]
	v_fma_f64 v[4:5], v[38:39], v[4:5], -v[99:100]
	v_mul_u32_u24_sdwa v114, v68, v103 dst_sel:DWORD dst_unused:UNUSED_PAD src0_sel:WORD_0 src1_sel:DWORD
	v_lshlrev_b32_sdwa v119, v26, v71 dst_sel:DWORD dst_unused:UNUSED_PAD src0_sel:DWORD src1_sel:BYTE_0
	v_fma_f64 v[44:45], v[44:45], v[8:9], v[81:82]
	v_fma_f64 v[38:39], v[46:47], v[8:9], -v[10:11]
	v_fma_f64 v[27:28], v[28:29], v[16:17], v[93:94]
	v_fma_f64 v[32:33], v[32:33], v[24:25], v[101:102]
	ds_read_b128 v[7:10], v51
	ds_read_b128 v[11:14], v50
	v_fma_f64 v[15:16], v[30:31], v[16:17], -v[18:19]
	v_fma_f64 v[17:18], v[34:35], v[24:25], -v[85:86]
	v_add_f64 v[29:30], v[87:88], v[91:92]
	v_add_f64 v[34:35], v[75:76], v[79:80]
	v_lshlrev_b32_sdwa v120, v26, v72 dst_sel:DWORD dst_unused:UNUSED_PAD src0_sel:DWORD src1_sel:BYTE_0
	v_cndmask_b32_e64 v6, v105, v60, s0
	v_mul_u32_u24_sdwa v115, v73, v103 dst_sel:DWORD dst_unused:UNUSED_PAD src0_sel:WORD_0 src1_sel:DWORD
	v_mul_u32_u24_sdwa v116, v74, v103 dst_sel:DWORD dst_unused:UNUSED_PAD src0_sel:WORD_0 src1_sel:DWORD
	v_lshlrev_b32_sdwa v117, v26, v69 dst_sel:DWORD dst_unused:UNUSED_PAD src0_sel:DWORD src1_sel:BYTE_0
	v_lshlrev_b32_sdwa v118, v26, v70 dst_sel:DWORD dst_unused:UNUSED_PAD src0_sel:DWORD src1_sel:BYTE_0
	v_add_f64 v[46:47], v[95:96], v[40:41]
	v_add_f64 v[65:66], v[83:84], v[42:43]
	s_waitcnt lgkmcnt(2)
	v_add_f64 v[69:70], v[22:23], v[75:76]
	v_add_f64 v[73:74], v[20:21], v[87:88]
	v_mov_b32_e32 v98, 0
	v_lshlrev_b32_e32 v97, 1, v6
	v_add_f64 v[67:68], v[36:37], v[44:45]
	v_add_f64 v[71:72], v[4:5], v[38:39]
	v_add_f64 v[75:76], v[75:76], -v[79:80]
	v_add_f64 v[77:78], v[27:28], v[32:33]
	v_add_f64 v[85:86], v[87:88], -v[91:92]
	s_waitcnt lgkmcnt(1)
	v_add_f64 v[87:88], v[9:10], v[83:84]
	v_add_f64 v[89:90], v[7:8], v[95:96]
	;; [unrolled: 1-line block ×3, first 2 shown]
	v_fma_f64 v[29:30], v[29:30], -0.5, v[20:21]
	v_fma_f64 v[34:35], v[34:35], -0.5, v[22:23]
	v_add_f64 v[101:102], v[0:1], v[27:28]
	v_add_f64 v[83:84], v[83:84], -v[42:43]
	v_add_f64 v[95:96], v[95:96], -v[40:41]
	s_waitcnt lgkmcnt(0)
	v_add_f64 v[93:94], v[13:14], v[4:5]
	v_lshlrev_b64 v[24:25], 4, v[97:98]
	v_add_f64 v[97:98], v[11:12], v[36:37]
	v_fma_f64 v[46:47], v[46:47], -0.5, v[7:8]
	v_fma_f64 v[65:66], v[65:66], -0.5, v[9:10]
	v_add_f64 v[103:104], v[4:5], -v[38:39]
	v_add_f64 v[105:106], v[36:37], -v[44:45]
	v_add_f64 v[99:100], v[2:3], v[15:16]
	v_add_f64 v[107:108], v[15:16], -v[17:18]
	v_fma_f64 v[67:68], v[67:68], -0.5, v[11:12]
	v_fma_f64 v[71:72], v[71:72], -0.5, v[13:14]
	v_add_f64 v[109:110], v[27:28], -v[32:33]
	v_fma_f64 v[0:1], v[77:78], -0.5, v[0:1]
	v_add_f64 v[4:5], v[69:70], v[79:80]
	v_add_f64 v[9:10], v[87:88], v[42:43]
	v_add_f64 v[7:8], v[89:90], v[40:41]
	v_fma_f64 v[77:78], v[81:82], -0.5, v[2:3]
	v_add_f64 v[2:3], v[73:74], v[91:92]
	v_fma_f64 v[19:20], v[75:76], s[6:7], v[29:30]
	v_fma_f64 v[21:22], v[85:86], s[8:9], v[34:35]
	v_fma_f64 v[27:28], v[75:76], s[8:9], v[29:30]
	v_fma_f64 v[29:30], v[85:86], s[6:7], v[34:35]
	v_add_f64 v[15:16], v[101:102], v[32:33]
	v_add_f64 v[13:14], v[93:94], v[38:39]
	;; [unrolled: 1-line block ×3, first 2 shown]
	v_fma_f64 v[31:32], v[83:84], s[6:7], v[46:47]
	v_fma_f64 v[33:34], v[95:96], s[8:9], v[65:66]
	;; [unrolled: 1-line block ×4, first 2 shown]
	v_add_f64 v[17:18], v[99:100], v[17:18]
	v_add_co_u32 v23, s0, s12, v24
	v_fma_f64 v[39:40], v[103:104], s[6:7], v[67:68]
	v_fma_f64 v[41:42], v[105:106], s[8:9], v[71:72]
	;; [unrolled: 1-line block ×8, first 2 shown]
	v_add_co_ci_u32_e64 v24, s0, s13, v25, s0
	v_add3_u32 v0, 0, v113, v117
	v_add3_u32 v1, 0, v114, v118
	;; [unrolled: 1-line block ×4, first 2 shown]
	s_barrier
	buffer_gl0_inv
	ds_write_b128 v0, v[2:5]
	ds_write_b128 v0, v[19:22] offset:192
	ds_write_b128 v0, v[27:30] offset:384
	ds_write_b128 v1, v[7:10]
	ds_write_b128 v1, v[31:34] offset:192
	ds_write_b128 v1, v[35:38] offset:384
	;; [unrolled: 3-line block ×4, first 2 shown]
	s_waitcnt lgkmcnt(0)
	s_barrier
	buffer_gl0_inv
	s_clause 0x1
	global_load_dwordx4 v[0:3], v[23:24], off offset:544
	global_load_dwordx4 v[7:10], v[23:24], off offset:560
	v_mul_lo_u16 v4, v111, 36
	v_lshrrev_b16 v25, 11, v55
	v_mul_lo_u16 v5, v112, 36
	v_lshlrev_b32_e32 v106, 4, v6
	v_cmp_lt_u32_e64 s0, 35, v60
	v_sub_nc_u16 v97, v61, v4
	v_mul_lo_u16 v4, v25, 36
	v_sub_nc_u16 v103, v48, v5
	v_cndmask_b32_e64 v105, 0, 0x6c0, s0
	v_lshlrev_b32_sdwa v5, v54, v97 dst_sel:DWORD dst_unused:UNUSED_PAD src0_sel:DWORD src1_sel:BYTE_0
	v_sub_nc_u16 v104, v49, v4
	v_lshlrev_b32_sdwa v4, v54, v103 dst_sel:DWORD dst_unused:UNUSED_PAD src0_sel:DWORD src1_sel:BYTE_0
	s_clause 0x2
	global_load_dwordx4 v[11:14], v5, s[12:13] offset:544
	global_load_dwordx4 v[15:18], v5, s[12:13] offset:560
	;; [unrolled: 1-line block ×3, first 2 shown]
	v_lshlrev_b32_sdwa v5, v54, v104 dst_sel:DWORD dst_unused:UNUSED_PAD src0_sel:DWORD src1_sel:BYTE_0
	s_clause 0x2
	global_load_dwordx4 v[27:30], v4, s[12:13] offset:560
	global_load_dwordx4 v[31:34], v5, s[12:13] offset:544
	;; [unrolled: 1-line block ×3, first 2 shown]
	ds_read_b128 v[39:42], v53
	ds_read_b128 v[43:46], v62 offset:8064
	ds_read_b128 v[65:68], v62 offset:5040
	ds_read_b128 v[52:55], v52
	ds_read_b128 v[69:72], v62 offset:9072
	ds_read_b128 v[73:76], v62 offset:6048
	v_lshlrev_b32_sdwa v110, v26, v97 dst_sel:DWORD dst_unused:UNUSED_PAD src0_sel:DWORD src1_sel:BYTE_0
	v_cmp_gt_u32_e64 s0, 45, v60
	s_waitcnt vmcnt(7) lgkmcnt(5)
	v_mul_f64 v[23:24], v[41:42], v[2:3]
	v_mul_f64 v[47:48], v[39:40], v[2:3]
	ds_read_b128 v[2:5], v62 offset:7056
	ds_read_b128 v[77:80], v62 offset:10080
	ds_read_b128 v[81:84], v62 offset:11088
	s_waitcnt vmcnt(6) lgkmcnt(7)
	v_mul_f64 v[89:90], v[45:46], v[9:10]
	v_mul_f64 v[9:10], v[43:44], v[9:10]
	ds_read_b128 v[85:88], v62
	s_waitcnt vmcnt(5) lgkmcnt(7)
	v_mul_f64 v[91:92], v[67:68], v[13:14]
	v_mul_f64 v[13:14], v[65:66], v[13:14]
	s_waitcnt vmcnt(4) lgkmcnt(5)
	v_mul_f64 v[93:94], v[71:72], v[17:18]
	v_mul_f64 v[17:18], v[69:70], v[17:18]
	;; [unrolled: 3-line block ×3, first 2 shown]
	v_fma_f64 v[23:24], v[39:40], v[0:1], v[23:24]
	v_fma_f64 v[39:40], v[41:42], v[0:1], -v[47:48]
	s_waitcnt vmcnt(2) lgkmcnt(2)
	v_mul_f64 v[0:1], v[79:80], v[29:30]
	v_mul_f64 v[29:30], v[77:78], v[29:30]
	s_waitcnt vmcnt(1)
	v_mul_f64 v[41:42], v[4:5], v[33:34]
	s_waitcnt vmcnt(0) lgkmcnt(1)
	v_mul_f64 v[47:48], v[83:84], v[37:38]
	v_fma_f64 v[43:44], v[43:44], v[7:8], v[89:90]
	v_fma_f64 v[45:46], v[45:46], v[7:8], -v[9:10]
	v_mul_f64 v[7:8], v[2:3], v[33:34]
	v_mul_f64 v[9:10], v[81:82], v[37:38]
	v_fma_f64 v[33:34], v[65:66], v[11:12], v[91:92]
	v_fma_f64 v[11:12], v[67:68], v[11:12], -v[13:14]
	v_fma_f64 v[37:38], v[69:70], v[15:16], v[93:94]
	v_fma_f64 v[13:14], v[71:72], v[15:16], -v[17:18]
	;; [unrolled: 2-line block ×3, first 2 shown]
	s_waitcnt lgkmcnt(0)
	v_add_f64 v[67:68], v[85:86], v[23:24]
	v_add_f64 v[71:72], v[87:88], v[39:40]
	v_fma_f64 v[17:18], v[77:78], v[27:28], v[0:1]
	v_fma_f64 v[65:66], v[79:80], v[27:28], -v[29:30]
	v_fma_f64 v[21:22], v[2:3], v[31:32], v[41:42]
	v_fma_f64 v[41:42], v[81:82], v[35:36], v[47:48]
	v_mov_b32_e32 v47, 0x6c0
	v_add_f64 v[27:28], v[23:24], v[43:44]
	v_fma_f64 v[4:5], v[4:5], v[31:32], -v[7:8]
	v_fma_f64 v[35:36], v[83:84], v[35:36], -v[9:10]
	v_add_f64 v[29:30], v[39:40], v[45:46]
	ds_read_b128 v[0:3], v51
	ds_read_b128 v[7:10], v50
	v_mul_u32_u24_sdwa v107, v111, v47 dst_sel:DWORD dst_unused:UNUSED_PAD src0_sel:WORD_0 src1_sel:DWORD
	v_mul_u32_u24_sdwa v108, v112, v47 dst_sel:DWORD dst_unused:UNUSED_PAD src0_sel:WORD_0 src1_sel:DWORD
	;; [unrolled: 1-line block ×3, first 2 shown]
	v_add_f64 v[39:40], v[39:40], -v[45:46]
	v_add_f64 v[31:32], v[33:34], v[37:38]
	v_add_f64 v[47:48], v[11:12], v[13:14]
	v_add_f64 v[24:25], v[23:24], -v[43:44]
	v_add_f64 v[93:94], v[11:12], -v[13:14]
	;; [unrolled: 1-line block ×3, first 2 shown]
	s_waitcnt lgkmcnt(0)
	s_barrier
	v_add_f64 v[49:50], v[15:16], v[17:18]
	v_add_f64 v[69:70], v[19:20], v[65:66]
	;; [unrolled: 1-line block ×4, first 2 shown]
	v_add_f64 v[97:98], v[19:20], -v[65:66]
	v_fma_f64 v[85:86], v[27:28], -0.5, v[85:86]
	v_add_f64 v[89:90], v[54:55], v[4:5]
	v_add_f64 v[75:76], v[4:5], v[35:36]
	;; [unrolled: 1-line block ×3, first 2 shown]
	v_fma_f64 v[87:88], v[29:30], -0.5, v[87:88]
	v_add_f64 v[77:78], v[2:3], v[11:12]
	v_add_f64 v[81:82], v[9:10], v[19:20]
	;; [unrolled: 1-line block ×3, first 2 shown]
	v_add_f64 v[15:16], v[15:16], -v[17:18]
	v_add_f64 v[99:100], v[4:5], -v[35:36]
	v_fma_f64 v[0:1], v[31:32], -0.5, v[0:1]
	v_fma_f64 v[2:3], v[47:48], -0.5, v[2:3]
	v_add_f64 v[101:102], v[21:22], -v[41:42]
	v_add_f64 v[20:21], v[67:68], v[43:44]
	v_add_f64 v[22:23], v[71:72], v[45:46]
	buffer_gl0_inv
	v_fma_f64 v[6:7], v[49:50], -0.5, v[7:8]
	v_fma_f64 v[69:70], v[69:70], -0.5, v[9:10]
	v_add_f64 v[8:9], v[91:92], v[41:42]
	v_fma_f64 v[51:52], v[73:74], -0.5, v[52:53]
	v_add_f64 v[10:11], v[89:90], v[35:36]
	;; [unrolled: 2-line block ×3, first 2 shown]
	v_fma_f64 v[35:36], v[39:40], s[6:7], v[85:86]
	v_fma_f64 v[37:38], v[24:25], s[8:9], v[87:88]
	;; [unrolled: 1-line block ×4, first 2 shown]
	v_add_f64 v[29:30], v[77:78], v[13:14]
	v_add_f64 v[33:34], v[81:82], v[65:66]
	v_fma_f64 v[43:44], v[93:94], s[6:7], v[0:1]
	v_fma_f64 v[45:46], v[95:96], s[8:9], v[2:3]
	;; [unrolled: 1-line block ×4, first 2 shown]
	v_add_f64 v[31:32], v[83:84], v[17:18]
	v_lshlrev_b32_sdwa v24, v26, v103 dst_sel:DWORD dst_unused:UNUSED_PAD src0_sel:DWORD src1_sel:BYTE_0
	v_lshlrev_b32_sdwa v25, v26, v104 dst_sel:DWORD dst_unused:UNUSED_PAD src0_sel:DWORD src1_sel:BYTE_0
	v_fma_f64 v[0:1], v[97:98], s[6:7], v[6:7]
	v_fma_f64 v[2:3], v[15:16], s[8:9], v[69:70]
	;; [unrolled: 1-line block ×6, first 2 shown]
	v_add3_u32 v26, 0, v105, v106
	v_fma_f64 v[14:15], v[101:102], s[8:9], v[53:54]
	v_fma_f64 v[18:19], v[101:102], s[6:7], v[53:54]
	v_add3_u32 v51, 0, v107, v110
	v_add3_u32 v24, 0, v108, v24
	;; [unrolled: 1-line block ×3, first 2 shown]
	ds_write_b128 v26, v[20:23]
	ds_write_b128 v26, v[35:38] offset:576
	ds_write_b128 v26, v[39:42] offset:1152
	ds_write_b128 v51, v[27:30]
	ds_write_b128 v51, v[43:46] offset:576
	ds_write_b128 v51, v[47:50] offset:1152
	;; [unrolled: 3-line block ×4, first 2 shown]
	s_waitcnt lgkmcnt(0)
	s_barrier
	buffer_gl0_inv
	ds_read_b128 v[28:31], v62
	ds_read_b128 v[48:51], v62 offset:1728
	ds_read_b128 v[44:47], v62 offset:3456
	;; [unrolled: 1-line block ×6, first 2 shown]
                                        ; implicit-def: $vgpr26_vgpr27
                                        ; implicit-def: $vgpr22_vgpr23
	s_and_saveexec_b32 s1, s0
	s_cbranch_execz .LBB0_15
; %bb.14:
	v_sub_nc_u32_e32 v0, 0, v64
	v_add_nc_u32_e32 v0, v63, v0
	ds_read_b128 v[4:7], v62 offset:2736
	ds_read_b128 v[8:11], v62 offset:4464
	;; [unrolled: 1-line block ×4, first 2 shown]
	ds_read_b128 v[0:3], v0
	ds_read_b128 v[20:23], v62 offset:9648
	ds_read_b128 v[24:27], v62 offset:11376
.LBB0_15:
	s_or_b32 exec_lo, exec_lo, s1
	v_mul_u32_u24_e32 v63, 6, v60
	s_mov_b32 s14, 0x37e14327
	s_mov_b32 s18, 0xe976ee23
	;; [unrolled: 1-line block ×4, first 2 shown]
	v_lshlrev_b32_e32 v83, 4, v63
	s_mov_b32 s8, 0x429ad128
	s_mov_b32 s6, 0x36b3c0b5
	;; [unrolled: 1-line block ×4, first 2 shown]
	s_clause 0x5
	global_load_dwordx4 v[63:66], v83, s[12:13] offset:1696
	global_load_dwordx4 v[67:70], v83, s[12:13] offset:1712
	;; [unrolled: 1-line block ×6, first 2 shown]
	s_mov_b32 s16, 0xaaaaaaaa
	s_mov_b32 s24, 0xb247c609
	;; [unrolled: 1-line block ×12, first 2 shown]
	s_waitcnt vmcnt(0) lgkmcnt(0)
	s_barrier
	buffer_gl0_inv
	v_mul_f64 v[87:88], v[50:51], v[65:66]
	v_mul_f64 v[65:66], v[48:49], v[65:66]
	;; [unrolled: 1-line block ×12, first 2 shown]
	v_fma_f64 v[48:49], v[48:49], v[63:64], v[87:88]
	v_fma_f64 v[50:51], v[50:51], v[63:64], -v[65:66]
	v_fma_f64 v[44:45], v[44:45], v[67:68], v[89:90]
	v_fma_f64 v[46:47], v[46:47], v[67:68], -v[69:70]
	;; [unrolled: 2-line block ×6, first 2 shown]
	v_add_f64 v[63:64], v[48:49], v[52:53]
	v_add_f64 v[65:66], v[50:51], v[54:55]
	;; [unrolled: 1-line block ×4, first 2 shown]
	v_add_f64 v[40:41], v[44:45], -v[40:41]
	v_add_f64 v[42:43], v[46:47], -v[42:43]
	v_add_f64 v[44:45], v[36:37], v[32:33]
	v_add_f64 v[46:47], v[38:39], v[34:35]
	v_add_f64 v[32:33], v[32:33], -v[36:37]
	v_add_f64 v[34:35], v[34:35], -v[38:39]
	;; [unrolled: 1-line block ×4, first 2 shown]
	v_add_f64 v[48:49], v[67:68], v[63:64]
	v_add_f64 v[50:51], v[69:70], v[65:66]
	v_add_f64 v[52:53], v[63:64], -v[44:45]
	v_add_f64 v[54:55], v[65:66], -v[46:47]
	;; [unrolled: 1-line block ×6, first 2 shown]
	v_add_f64 v[40:41], v[32:33], v[40:41]
	v_add_f64 v[42:43], v[34:35], v[42:43]
	v_add_f64 v[32:33], v[36:37], -v[32:33]
	v_add_f64 v[34:35], v[38:39], -v[34:35]
	;; [unrolled: 1-line block ×4, first 2 shown]
	v_add_f64 v[48:49], v[44:45], v[48:49]
	v_add_f64 v[50:51], v[46:47], v[50:51]
	v_add_f64 v[44:45], v[44:45], -v[67:68]
	v_add_f64 v[46:47], v[46:47], -v[69:70]
	v_mul_f64 v[52:53], v[52:53], s[14:15]
	v_mul_f64 v[54:55], v[54:55], s[14:15]
	v_mul_f64 v[71:72], v[71:72], s[18:19]
	v_mul_f64 v[73:74], v[73:74], s[18:19]
	v_mul_f64 v[79:80], v[75:76], s[8:9]
	v_mul_f64 v[81:82], v[77:78], s[8:9]
	v_add_f64 v[36:37], v[40:41], v[36:37]
	v_add_f64 v[38:39], v[42:43], v[38:39]
	;; [unrolled: 1-line block ×4, first 2 shown]
	v_mul_f64 v[67:68], v[44:45], s[6:7]
	v_mul_f64 v[69:70], v[46:47], s[6:7]
	v_fma_f64 v[40:41], v[44:45], s[6:7], v[52:53]
	v_fma_f64 v[42:43], v[46:47], s[6:7], v[54:55]
	;; [unrolled: 1-line block ×4, first 2 shown]
	v_fma_f64 v[71:72], v[75:76], s[8:9], -v[71:72]
	v_fma_f64 v[73:74], v[77:78], s[8:9], -v[73:74]
	;; [unrolled: 1-line block ×6, first 2 shown]
	v_fma_f64 v[48:49], v[48:49], s[16:17], v[28:29]
	v_fma_f64 v[50:51], v[50:51], s[16:17], v[30:31]
	v_fma_f64 v[63:64], v[63:64], s[20:21], -v[67:68]
	v_fma_f64 v[65:66], v[65:66], s[20:21], -v[69:70]
	v_fma_f64 v[67:68], v[36:37], s[28:29], v[44:45]
	v_fma_f64 v[69:70], v[38:39], s[28:29], v[46:47]
	;; [unrolled: 1-line block ×6, first 2 shown]
	v_add_f64 v[75:76], v[40:41], v[48:49]
	v_add_f64 v[77:78], v[42:43], v[50:51]
	;; [unrolled: 1-line block ×7, first 2 shown]
	v_add_f64 v[34:35], v[77:78], -v[67:68]
	v_add_f64 v[36:37], v[73:74], v[52:53]
	v_add_f64 v[38:39], v[54:55], -v[71:72]
	v_add_f64 v[40:41], v[48:49], -v[44:45]
	v_add_f64 v[42:43], v[46:47], v[50:51]
	v_add_f64 v[44:45], v[44:45], v[48:49]
	v_add_f64 v[46:47], v[50:51], -v[46:47]
	v_add_f64 v[48:49], v[52:53], -v[73:74]
	v_add_f64 v[50:51], v[71:72], v[54:55]
	v_add_f64 v[52:53], v[75:76], -v[69:70]
	v_add_f64 v[54:55], v[67:68], v[77:78]
	ds_write_b128 v62, v[28:31]
	ds_write_b128 v62, v[32:35] offset:1728
	ds_write_b128 v62, v[36:39] offset:3456
	;; [unrolled: 1-line block ×6, first 2 shown]
	s_and_saveexec_b32 s1, s0
	s_cbranch_execz .LBB0_17
; %bb.16:
	v_subrev_nc_u32_e32 v28, 45, v60
	v_mov_b32_e32 v29, 0
	v_cndmask_b32_e64 v28, v28, v61, s0
	v_mul_i32_i24_e32 v28, 6, v28
	v_lshlrev_b64 v[28:29], 4, v[28:29]
	v_add_co_u32 v48, s0, s12, v28
	v_add_co_ci_u32_e64 v49, s0, s13, v29, s0
	s_clause 0x5
	global_load_dwordx4 v[28:31], v[48:49], off offset:1712
	global_load_dwordx4 v[32:35], v[48:49], off offset:1760
	;; [unrolled: 1-line block ×6, first 2 shown]
	s_waitcnt vmcnt(5)
	v_mul_f64 v[52:53], v[8:9], v[30:31]
	s_waitcnt vmcnt(4)
	v_mul_f64 v[54:55], v[20:21], v[34:35]
	;; [unrolled: 2-line block ×4, first 2 shown]
	v_mul_f64 v[30:31], v[10:11], v[30:31]
	v_mul_f64 v[34:35], v[22:23], v[34:35]
	;; [unrolled: 1-line block ×4, first 2 shown]
	s_waitcnt vmcnt(1)
	v_mul_f64 v[67:68], v[18:19], v[46:47]
	s_waitcnt vmcnt(0)
	v_mul_f64 v[69:70], v[14:15], v[50:51]
	v_mul_f64 v[50:51], v[12:13], v[50:51]
	;; [unrolled: 1-line block ×3, first 2 shown]
	v_fma_f64 v[10:11], v[10:11], v[28:29], -v[52:53]
	v_fma_f64 v[22:23], v[22:23], v[32:33], -v[54:55]
	;; [unrolled: 1-line block ×4, first 2 shown]
	v_fma_f64 v[8:9], v[8:9], v[28:29], v[30:31]
	v_fma_f64 v[20:21], v[20:21], v[32:33], v[34:35]
	;; [unrolled: 1-line block ×6, first 2 shown]
	v_fma_f64 v[14:15], v[14:15], v[48:49], -v[50:51]
	v_fma_f64 v[18:19], v[18:19], v[44:45], -v[46:47]
	v_add_f64 v[28:29], v[10:11], v[22:23]
	v_add_f64 v[10:11], v[10:11], -v[22:23]
	v_add_f64 v[30:31], v[6:7], v[26:27]
	v_add_f64 v[6:7], v[6:7], -v[26:27]
	;; [unrolled: 2-line block ×4, first 2 shown]
	v_add_f64 v[36:37], v[16:17], -v[12:13]
	v_add_f64 v[12:13], v[12:13], v[16:17]
	v_add_f64 v[20:21], v[14:15], v[18:19]
	v_add_f64 v[14:15], v[18:19], -v[14:15]
	v_add_f64 v[16:17], v[28:29], v[30:31]
	v_add_f64 v[42:43], v[10:11], -v[6:7]
	;; [unrolled: 2-line block ×3, first 2 shown]
	v_add_f64 v[22:23], v[36:37], -v[8:9]
	v_add_f64 v[26:27], v[34:35], -v[12:13]
	v_add_f64 v[24:25], v[30:31], -v[20:21]
	v_add_f64 v[40:41], v[14:15], -v[10:11]
	v_add_f64 v[8:9], v[36:37], v[8:9]
	v_add_f64 v[36:37], v[4:5], -v[36:37]
	v_add_f64 v[10:11], v[14:15], v[10:11]
	v_add_f64 v[14:15], v[6:7], -v[14:15]
	;; [unrolled: 2-line block ×3, first 2 shown]
	v_add_f64 v[28:29], v[28:29], -v[30:31]
	v_mul_f64 v[46:47], v[42:43], s[8:9]
	v_add_f64 v[18:19], v[12:13], v[18:19]
	v_add_f64 v[12:13], v[12:13], -v[32:33]
	v_mul_f64 v[22:23], v[22:23], s[18:19]
	v_mul_f64 v[26:27], v[26:27], s[14:15]
	;; [unrolled: 1-line block ×5, first 2 shown]
	v_add_f64 v[32:33], v[32:33], -v[34:35]
	v_add_f64 v[4:5], v[8:9], v[4:5]
	v_add_f64 v[6:7], v[10:11], v[6:7]
	;; [unrolled: 1-line block ×3, first 2 shown]
	v_mul_f64 v[30:31], v[20:21], s[6:7]
	v_add_f64 v[0:1], v[0:1], v[18:19]
	v_mul_f64 v[34:35], v[12:13], s[6:7]
	v_fma_f64 v[8:9], v[36:37], s[24:25], v[22:23]
	v_fma_f64 v[12:13], v[12:13], s[6:7], v[26:27]
	v_fma_f64 v[10:11], v[20:21], s[6:7], v[24:25]
	v_fma_f64 v[20:21], v[36:37], s[26:27], -v[44:45]
	v_fma_f64 v[22:23], v[38:39], s[8:9], -v[22:23]
	;; [unrolled: 1-line block ×5, first 2 shown]
	v_fma_f64 v[16:17], v[16:17], s[16:17], v[2:3]
	v_fma_f64 v[28:29], v[28:29], s[20:21], -v[30:31]
	v_fma_f64 v[30:31], v[14:15], s[24:25], v[40:41]
	v_fma_f64 v[14:15], v[14:15], s[26:27], -v[46:47]
	v_fma_f64 v[18:19], v[18:19], s[16:17], v[0:1]
	v_fma_f64 v[32:33], v[32:33], s[20:21], -v[34:35]
	v_fma_f64 v[8:9], v[4:5], s[28:29], v[8:9]
	v_fma_f64 v[20:21], v[4:5], s[28:29], v[20:21]
	;; [unrolled: 1-line block ×4, first 2 shown]
	v_add_f64 v[34:35], v[10:11], v[16:17]
	v_add_f64 v[22:23], v[24:25], v[16:17]
	;; [unrolled: 1-line block ×3, first 2 shown]
	v_fma_f64 v[28:29], v[6:7], s[28:29], v[30:31]
	v_add_f64 v[38:39], v[12:13], v[18:19]
	v_fma_f64 v[30:31], v[6:7], s[28:29], v[14:15]
	v_add_f64 v[40:41], v[26:27], v[18:19]
	v_add_f64 v[12:13], v[32:33], v[18:19]
	v_add_f64 v[26:27], v[34:35], -v[8:9]
	v_add_f64 v[10:11], v[20:21], v[22:23]
	v_add_f64 v[22:23], v[22:23], -v[20:21]
	v_add_f64 v[14:15], v[16:17], -v[4:5]
	v_add_f64 v[24:25], v[28:29], v[38:39]
	v_add_f64 v[18:19], v[4:5], v[16:17]
	v_add_f64 v[20:21], v[30:31], v[40:41]
	v_add_f64 v[16:17], v[12:13], -v[36:37]
	v_add_f64 v[12:13], v[36:37], v[12:13]
	v_add_f64 v[6:7], v[8:9], v[34:35]
	v_add_f64 v[8:9], v[40:41], -v[30:31]
	v_add_f64 v[4:5], v[38:39], -v[28:29]
	ds_write_b128 v62, v[0:3] offset:1008
	ds_write_b128 v62, v[24:27] offset:2736
	;; [unrolled: 1-line block ×7, first 2 shown]
.LBB0_17:
	s_or_b32 exec_lo, exec_lo, s1
	s_waitcnt lgkmcnt(0)
	s_barrier
	buffer_gl0_inv
	s_and_saveexec_b32 s0, vcc_lo
	s_cbranch_execz .LBB0_19
; %bb.18:
	v_mad_u64_u32 v[4:5], null, s2, v60, 0
	v_mul_lo_u32 v1, s5, v58
	v_mul_lo_u32 v2, s4, v59
	v_mad_u64_u32 v[6:7], null, s4, v58, 0
	v_add_nc_u32_e32 v15, 63, v60
	v_lshl_add_u32 v31, v60, 4, 0
	v_mov_b32_e32 v0, v5
	v_add_nc_u32_e32 v16, 0x7e, v60
	v_add_nc_u32_e32 v17, 0xbd, v60
	v_mad_u64_u32 v[8:9], null, s2, v15, 0
	v_add3_u32 v7, v7, v2, v1
	v_mad_u64_u32 v[10:11], null, s3, v60, v[0:1]
	v_lshlrev_b64 v[11:12], 4, v[56:57]
	ds_read_b128 v[0:3], v31
	v_lshlrev_b64 v[6:7], 4, v[6:7]
	v_mad_u64_u32 v[13:14], null, s2, v16, 0
	v_add_nc_u32_e32 v18, 0xfc, v60
	v_mov_b32_e32 v5, v10
	v_add_nc_u32_e32 v20, 0x13b, v60
	v_add_co_u32 v6, vcc_lo, s10, v6
	v_add_co_ci_u32_e32 v7, vcc_lo, s11, v7, vcc_lo
	v_lshlrev_b64 v[4:5], 4, v[4:5]
	v_add_co_u32 v32, vcc_lo, v6, v11
	v_add_co_ci_u32_e32 v33, vcc_lo, v7, v12, vcc_lo
	v_mad_u64_u32 v[6:7], null, s3, v15, v[9:10]
	v_mov_b32_e32 v7, v14
	v_add_co_u32 v10, vcc_lo, v32, v4
	v_add_co_ci_u32_e32 v11, vcc_lo, v33, v5, vcc_lo
	v_mad_u64_u32 v[14:15], null, s3, v16, v[7:8]
	v_mov_b32_e32 v9, v6
	ds_read_b128 v[4:7], v31 offset:1008
	s_waitcnt lgkmcnt(1)
	global_store_dwordx4 v[10:11], v[0:3], off
	v_mad_u64_u32 v[10:11], null, s2, v17, 0
	v_mad_u64_u32 v[15:16], null, s2, v18, 0
	ds_read_b128 v[0:3], v31 offset:2016
	v_lshlrev_b64 v[12:13], 4, v[13:14]
	v_lshlrev_b64 v[8:9], 4, v[8:9]
	v_add_nc_u32_e32 v24, 0x17a, v60
	v_add_nc_u32_e32 v28, 0x1b9, v60
	;; [unrolled: 1-line block ×3, first 2 shown]
	v_mov_b32_e32 v14, v16
	v_mad_u64_u32 v[16:17], null, s3, v17, v[11:12]
	v_add_co_u32 v8, vcc_lo, v32, v8
	v_add_co_ci_u32_e32 v9, vcc_lo, v33, v9, vcc_lo
	v_mad_u64_u32 v[17:18], null, s3, v18, v[14:15]
	v_mad_u64_u32 v[18:19], null, s2, v20, 0
	v_add_co_u32 v12, vcc_lo, v32, v12
	v_add_co_ci_u32_e32 v13, vcc_lo, v33, v13, vcc_lo
	v_mov_b32_e32 v11, v16
	s_waitcnt lgkmcnt(1)
	global_store_dwordx4 v[8:9], v[4:7], off
	ds_read_b128 v[4:7], v31 offset:3024
	s_waitcnt lgkmcnt(1)
	global_store_dwordx4 v[12:13], v[0:3], off
	v_mov_b32_e32 v0, v19
	v_lshlrev_b64 v[1:2], 4, v[10:11]
	v_mov_b32_e32 v16, v17
	v_mad_u64_u32 v[26:27], null, s2, v29, 0
	v_mad_u64_u32 v[10:11], null, s3, v20, v[0:1]
	v_lshlrev_b64 v[8:9], 4, v[15:16]
	v_mad_u64_u32 v[16:17], null, s2, v24, 0
	v_add_co_u32 v20, vcc_lo, v32, v1
	v_add_co_ci_u32_e32 v21, vcc_lo, v33, v2, vcc_lo
	v_mov_b32_e32 v19, v10
	ds_read_b128 v[0:3], v31 offset:4032
	v_mov_b32_e32 v12, v17
	v_add_co_u32 v22, vcc_lo, v32, v8
	v_lshlrev_b64 v[13:14], 4, v[18:19]
	v_add_co_ci_u32_e32 v23, vcc_lo, v33, v9, vcc_lo
	ds_read_b128 v[8:11], v31 offset:5040
	s_waitcnt lgkmcnt(2)
	global_store_dwordx4 v[20:21], v[4:7], off
	v_mad_u64_u32 v[17:18], null, s3, v24, v[12:13]
	v_mad_u64_u32 v[18:19], null, s2, v28, 0
	v_add_co_u32 v24, vcc_lo, v32, v13
	v_add_co_ci_u32_e32 v25, vcc_lo, v33, v14, vcc_lo
	ds_read_b128 v[12:15], v31 offset:6048
	v_mov_b32_e32 v4, v19
	s_waitcnt lgkmcnt(2)
	global_store_dwordx4 v[22:23], v[0:3], off
	v_lshlrev_b64 v[0:1], 4, v[16:17]
	v_mad_u64_u32 v[2:3], null, s3, v28, v[4:5]
	v_mov_b32_e32 v3, v27
	v_add_co_u32 v4, vcc_lo, v32, v0
	s_waitcnt lgkmcnt(1)
	global_store_dwordx4 v[24:25], v[8:11], off
	v_add_nc_u32_e32 v9, 0x237, v60
	v_add_co_ci_u32_e32 v5, vcc_lo, v33, v1, vcc_lo
	v_mad_u64_u32 v[6:7], null, s3, v29, v[3:4]
	v_mov_b32_e32 v19, v2
	ds_read_b128 v[0:3], v31 offset:7056
	v_mad_u64_u32 v[16:17], null, s2, v9, 0
	v_add_nc_u32_e32 v10, 0x276, v60
	s_waitcnt lgkmcnt(1)
	global_store_dwordx4 v[4:5], v[12:15], off
	v_mov_b32_e32 v27, v6
	v_lshlrev_b64 v[4:5], 4, v[18:19]
	v_add_nc_u32_e32 v11, 0x2b5, v60
	v_mad_u64_u32 v[20:21], null, s2, v10, 0
	v_lshlrev_b64 v[7:8], 4, v[26:27]
	v_mov_b32_e32 v6, v17
	v_add_co_u32 v24, vcc_lo, v32, v4
	v_add_co_ci_u32_e32 v25, vcc_lo, v33, v5, vcc_lo
	v_mad_u64_u32 v[5:6], null, s3, v9, v[6:7]
	v_mad_u64_u32 v[22:23], null, s2, v11, 0
	v_mov_b32_e32 v4, v21
	v_add_co_u32 v26, vcc_lo, v32, v7
	v_add_co_ci_u32_e32 v27, vcc_lo, v33, v8, vcc_lo
	v_mad_u64_u32 v[9:10], null, s3, v10, v[4:5]
	v_mov_b32_e32 v4, v23
	v_mov_b32_e32 v17, v5
	v_mad_u64_u32 v[28:29], null, s3, v11, v[4:5]
	v_mov_b32_e32 v21, v9
	ds_read_b128 v[4:7], v31 offset:8064
	ds_read_b128 v[8:11], v31 offset:9072
	v_lshlrev_b64 v[29:30], 4, v[16:17]
	ds_read_b128 v[12:15], v31 offset:10080
	ds_read_b128 v[16:19], v31 offset:11088
	v_lshlrev_b64 v[20:21], 4, v[20:21]
	v_mov_b32_e32 v23, v28
	v_add_co_u32 v28, vcc_lo, v32, v29
	v_add_co_ci_u32_e32 v29, vcc_lo, v33, v30, vcc_lo
	v_lshlrev_b64 v[22:23], 4, v[22:23]
	v_add_co_u32 v20, vcc_lo, v32, v20
	v_add_co_ci_u32_e32 v21, vcc_lo, v33, v21, vcc_lo
	v_add_co_u32 v22, vcc_lo, v32, v22
	v_add_co_ci_u32_e32 v23, vcc_lo, v33, v23, vcc_lo
	s_waitcnt lgkmcnt(4)
	global_store_dwordx4 v[24:25], v[0:3], off
	s_waitcnt lgkmcnt(3)
	global_store_dwordx4 v[26:27], v[4:7], off
	s_waitcnt lgkmcnt(2)
	global_store_dwordx4 v[28:29], v[8:11], off
	s_waitcnt lgkmcnt(1)
	global_store_dwordx4 v[20:21], v[12:15], off
	s_waitcnt lgkmcnt(0)
	global_store_dwordx4 v[22:23], v[16:19], off
.LBB0_19:
	s_endpgm
	.section	.rodata,"a",@progbits
	.p2align	6, 0x0
	.amdhsa_kernel fft_rtc_back_len756_factors_2_2_3_3_3_7_wgs_63_tpt_63_dp_op_CI_CI_sbrr_dirReg
		.amdhsa_group_segment_fixed_size 0
		.amdhsa_private_segment_fixed_size 0
		.amdhsa_kernarg_size 104
		.amdhsa_user_sgpr_count 6
		.amdhsa_user_sgpr_private_segment_buffer 1
		.amdhsa_user_sgpr_dispatch_ptr 0
		.amdhsa_user_sgpr_queue_ptr 0
		.amdhsa_user_sgpr_kernarg_segment_ptr 1
		.amdhsa_user_sgpr_dispatch_id 0
		.amdhsa_user_sgpr_flat_scratch_init 0
		.amdhsa_user_sgpr_private_segment_size 0
		.amdhsa_wavefront_size32 1
		.amdhsa_uses_dynamic_stack 0
		.amdhsa_system_sgpr_private_segment_wavefront_offset 0
		.amdhsa_system_sgpr_workgroup_id_x 1
		.amdhsa_system_sgpr_workgroup_id_y 0
		.amdhsa_system_sgpr_workgroup_id_z 0
		.amdhsa_system_sgpr_workgroup_info 0
		.amdhsa_system_vgpr_workitem_id 0
		.amdhsa_next_free_vgpr 121
		.amdhsa_next_free_sgpr 31
		.amdhsa_reserve_vcc 1
		.amdhsa_reserve_flat_scratch 0
		.amdhsa_float_round_mode_32 0
		.amdhsa_float_round_mode_16_64 0
		.amdhsa_float_denorm_mode_32 3
		.amdhsa_float_denorm_mode_16_64 3
		.amdhsa_dx10_clamp 1
		.amdhsa_ieee_mode 1
		.amdhsa_fp16_overflow 0
		.amdhsa_workgroup_processor_mode 1
		.amdhsa_memory_ordered 1
		.amdhsa_forward_progress 0
		.amdhsa_shared_vgpr_count 0
		.amdhsa_exception_fp_ieee_invalid_op 0
		.amdhsa_exception_fp_denorm_src 0
		.amdhsa_exception_fp_ieee_div_zero 0
		.amdhsa_exception_fp_ieee_overflow 0
		.amdhsa_exception_fp_ieee_underflow 0
		.amdhsa_exception_fp_ieee_inexact 0
		.amdhsa_exception_int_div_zero 0
	.end_amdhsa_kernel
	.text
.Lfunc_end0:
	.size	fft_rtc_back_len756_factors_2_2_3_3_3_7_wgs_63_tpt_63_dp_op_CI_CI_sbrr_dirReg, .Lfunc_end0-fft_rtc_back_len756_factors_2_2_3_3_3_7_wgs_63_tpt_63_dp_op_CI_CI_sbrr_dirReg
                                        ; -- End function
	.section	.AMDGPU.csdata,"",@progbits
; Kernel info:
; codeLenInByte = 10744
; NumSgprs: 33
; NumVgprs: 121
; ScratchSize: 0
; MemoryBound: 0
; FloatMode: 240
; IeeeMode: 1
; LDSByteSize: 0 bytes/workgroup (compile time only)
; SGPRBlocks: 4
; VGPRBlocks: 15
; NumSGPRsForWavesPerEU: 33
; NumVGPRsForWavesPerEU: 121
; Occupancy: 8
; WaveLimiterHint : 1
; COMPUTE_PGM_RSRC2:SCRATCH_EN: 0
; COMPUTE_PGM_RSRC2:USER_SGPR: 6
; COMPUTE_PGM_RSRC2:TRAP_HANDLER: 0
; COMPUTE_PGM_RSRC2:TGID_X_EN: 1
; COMPUTE_PGM_RSRC2:TGID_Y_EN: 0
; COMPUTE_PGM_RSRC2:TGID_Z_EN: 0
; COMPUTE_PGM_RSRC2:TIDIG_COMP_CNT: 0
	.text
	.p2alignl 6, 3214868480
	.fill 48, 4, 3214868480
	.type	__hip_cuid_29dfd381c93f2e88,@object ; @__hip_cuid_29dfd381c93f2e88
	.section	.bss,"aw",@nobits
	.globl	__hip_cuid_29dfd381c93f2e88
__hip_cuid_29dfd381c93f2e88:
	.byte	0                               ; 0x0
	.size	__hip_cuid_29dfd381c93f2e88, 1

	.ident	"AMD clang version 19.0.0git (https://github.com/RadeonOpenCompute/llvm-project roc-6.4.0 25133 c7fe45cf4b819c5991fe208aaa96edf142730f1d)"
	.section	".note.GNU-stack","",@progbits
	.addrsig
	.addrsig_sym __hip_cuid_29dfd381c93f2e88
	.amdgpu_metadata
---
amdhsa.kernels:
  - .args:
      - .actual_access:  read_only
        .address_space:  global
        .offset:         0
        .size:           8
        .value_kind:     global_buffer
      - .offset:         8
        .size:           8
        .value_kind:     by_value
      - .actual_access:  read_only
        .address_space:  global
        .offset:         16
        .size:           8
        .value_kind:     global_buffer
      - .actual_access:  read_only
        .address_space:  global
        .offset:         24
        .size:           8
        .value_kind:     global_buffer
      - .actual_access:  read_only
        .address_space:  global
        .offset:         32
        .size:           8
        .value_kind:     global_buffer
      - .offset:         40
        .size:           8
        .value_kind:     by_value
      - .actual_access:  read_only
        .address_space:  global
        .offset:         48
        .size:           8
        .value_kind:     global_buffer
      - .actual_access:  read_only
        .address_space:  global
        .offset:         56
        .size:           8
        .value_kind:     global_buffer
      - .offset:         64
        .size:           4
        .value_kind:     by_value
      - .actual_access:  read_only
        .address_space:  global
        .offset:         72
        .size:           8
        .value_kind:     global_buffer
      - .actual_access:  read_only
        .address_space:  global
        .offset:         80
        .size:           8
        .value_kind:     global_buffer
      - .actual_access:  read_only
        .address_space:  global
        .offset:         88
        .size:           8
        .value_kind:     global_buffer
      - .actual_access:  write_only
        .address_space:  global
        .offset:         96
        .size:           8
        .value_kind:     global_buffer
    .group_segment_fixed_size: 0
    .kernarg_segment_align: 8
    .kernarg_segment_size: 104
    .language:       OpenCL C
    .language_version:
      - 2
      - 0
    .max_flat_workgroup_size: 63
    .name:           fft_rtc_back_len756_factors_2_2_3_3_3_7_wgs_63_tpt_63_dp_op_CI_CI_sbrr_dirReg
    .private_segment_fixed_size: 0
    .sgpr_count:     33
    .sgpr_spill_count: 0
    .symbol:         fft_rtc_back_len756_factors_2_2_3_3_3_7_wgs_63_tpt_63_dp_op_CI_CI_sbrr_dirReg.kd
    .uniform_work_group_size: 1
    .uses_dynamic_stack: false
    .vgpr_count:     121
    .vgpr_spill_count: 0
    .wavefront_size: 32
    .workgroup_processor_mode: 1
amdhsa.target:   amdgcn-amd-amdhsa--gfx1030
amdhsa.version:
  - 1
  - 2
...

	.end_amdgpu_metadata
